;; amdgpu-corpus repo=ROCm/rocFFT kind=compiled arch=gfx906 opt=O3
	.text
	.amdgcn_target "amdgcn-amd-amdhsa--gfx906"
	.amdhsa_code_object_version 6
	.protected	fft_rtc_back_len714_factors_3_17_7_2_wgs_51_tpt_51_halfLds_half_ip_CI_unitstride_sbrr_dirReg ; -- Begin function fft_rtc_back_len714_factors_3_17_7_2_wgs_51_tpt_51_halfLds_half_ip_CI_unitstride_sbrr_dirReg
	.globl	fft_rtc_back_len714_factors_3_17_7_2_wgs_51_tpt_51_halfLds_half_ip_CI_unitstride_sbrr_dirReg
	.p2align	8
	.type	fft_rtc_back_len714_factors_3_17_7_2_wgs_51_tpt_51_halfLds_half_ip_CI_unitstride_sbrr_dirReg,@function
fft_rtc_back_len714_factors_3_17_7_2_wgs_51_tpt_51_halfLds_half_ip_CI_unitstride_sbrr_dirReg: ; @fft_rtc_back_len714_factors_3_17_7_2_wgs_51_tpt_51_halfLds_half_ip_CI_unitstride_sbrr_dirReg
; %bb.0:
	s_load_dwordx2 s[12:13], s[4:5], 0x50
	s_load_dwordx4 s[8:11], s[4:5], 0x0
	s_load_dwordx2 s[2:3], s[4:5], 0x18
	v_mul_u32_u24_e32 v1, 0x506, v0
	v_add_u32_sdwa v5, s6, v1 dst_sel:DWORD dst_unused:UNUSED_PAD src0_sel:DWORD src1_sel:WORD_1
	v_mov_b32_e32 v3, 0
	s_waitcnt lgkmcnt(0)
	v_cmp_lt_u64_e64 s[0:1], s[10:11], 2
	v_mov_b32_e32 v1, 0
	v_mov_b32_e32 v6, v3
	s_and_b64 vcc, exec, s[0:1]
	v_mov_b32_e32 v2, 0
	s_cbranch_vccnz .LBB0_8
; %bb.1:
	s_load_dwordx2 s[0:1], s[4:5], 0x10
	s_add_u32 s6, s2, 8
	s_addc_u32 s7, s3, 0
	v_mov_b32_e32 v1, 0
	v_mov_b32_e32 v2, 0
	s_waitcnt lgkmcnt(0)
	s_add_u32 s14, s0, 8
	s_addc_u32 s15, s1, 0
	s_mov_b64 s[16:17], 1
.LBB0_2:                                ; =>This Inner Loop Header: Depth=1
	s_load_dwordx2 s[18:19], s[14:15], 0x0
                                        ; implicit-def: $vgpr7_vgpr8
	s_waitcnt lgkmcnt(0)
	v_or_b32_e32 v4, s19, v6
	v_cmp_ne_u64_e32 vcc, 0, v[3:4]
	s_and_saveexec_b64 s[0:1], vcc
	s_xor_b64 s[20:21], exec, s[0:1]
	s_cbranch_execz .LBB0_4
; %bb.3:                                ;   in Loop: Header=BB0_2 Depth=1
	v_cvt_f32_u32_e32 v4, s18
	v_cvt_f32_u32_e32 v7, s19
	s_sub_u32 s0, 0, s18
	s_subb_u32 s1, 0, s19
	v_mac_f32_e32 v4, 0x4f800000, v7
	v_rcp_f32_e32 v4, v4
	v_mul_f32_e32 v4, 0x5f7ffffc, v4
	v_mul_f32_e32 v7, 0x2f800000, v4
	v_trunc_f32_e32 v7, v7
	v_mac_f32_e32 v4, 0xcf800000, v7
	v_cvt_u32_f32_e32 v7, v7
	v_cvt_u32_f32_e32 v4, v4
	v_mul_lo_u32 v8, s0, v7
	v_mul_hi_u32 v9, s0, v4
	v_mul_lo_u32 v11, s1, v4
	v_mul_lo_u32 v10, s0, v4
	v_add_u32_e32 v8, v9, v8
	v_add_u32_e32 v8, v8, v11
	v_mul_hi_u32 v9, v4, v10
	v_mul_lo_u32 v11, v4, v8
	v_mul_hi_u32 v13, v4, v8
	v_mul_hi_u32 v12, v7, v10
	v_mul_lo_u32 v10, v7, v10
	v_mul_hi_u32 v14, v7, v8
	v_add_co_u32_e32 v9, vcc, v9, v11
	v_addc_co_u32_e32 v11, vcc, 0, v13, vcc
	v_mul_lo_u32 v8, v7, v8
	v_add_co_u32_e32 v9, vcc, v9, v10
	v_addc_co_u32_e32 v9, vcc, v11, v12, vcc
	v_addc_co_u32_e32 v10, vcc, 0, v14, vcc
	v_add_co_u32_e32 v8, vcc, v9, v8
	v_addc_co_u32_e32 v9, vcc, 0, v10, vcc
	v_add_co_u32_e32 v4, vcc, v4, v8
	v_addc_co_u32_e32 v7, vcc, v7, v9, vcc
	v_mul_lo_u32 v8, s0, v7
	v_mul_hi_u32 v9, s0, v4
	v_mul_lo_u32 v10, s1, v4
	v_mul_lo_u32 v11, s0, v4
	v_add_u32_e32 v8, v9, v8
	v_add_u32_e32 v8, v8, v10
	v_mul_lo_u32 v12, v4, v8
	v_mul_hi_u32 v13, v4, v11
	v_mul_hi_u32 v14, v4, v8
	;; [unrolled: 1-line block ×3, first 2 shown]
	v_mul_lo_u32 v11, v7, v11
	v_mul_hi_u32 v9, v7, v8
	v_add_co_u32_e32 v12, vcc, v13, v12
	v_addc_co_u32_e32 v13, vcc, 0, v14, vcc
	v_mul_lo_u32 v8, v7, v8
	v_add_co_u32_e32 v11, vcc, v12, v11
	v_addc_co_u32_e32 v10, vcc, v13, v10, vcc
	v_addc_co_u32_e32 v9, vcc, 0, v9, vcc
	v_add_co_u32_e32 v8, vcc, v10, v8
	v_addc_co_u32_e32 v9, vcc, 0, v9, vcc
	v_add_co_u32_e32 v4, vcc, v4, v8
	v_addc_co_u32_e32 v9, vcc, v7, v9, vcc
	v_mad_u64_u32 v[7:8], s[0:1], v5, v9, 0
	v_mul_hi_u32 v10, v5, v4
	v_add_co_u32_e32 v11, vcc, v10, v7
	v_addc_co_u32_e32 v12, vcc, 0, v8, vcc
	v_mad_u64_u32 v[7:8], s[0:1], v6, v4, 0
	v_mad_u64_u32 v[9:10], s[0:1], v6, v9, 0
	v_add_co_u32_e32 v4, vcc, v11, v7
	v_addc_co_u32_e32 v4, vcc, v12, v8, vcc
	v_addc_co_u32_e32 v7, vcc, 0, v10, vcc
	v_add_co_u32_e32 v4, vcc, v4, v9
	v_addc_co_u32_e32 v9, vcc, 0, v7, vcc
	v_mul_lo_u32 v10, s19, v4
	v_mul_lo_u32 v11, s18, v9
	v_mad_u64_u32 v[7:8], s[0:1], s18, v4, 0
	v_add3_u32 v8, v8, v11, v10
	v_sub_u32_e32 v10, v6, v8
	v_mov_b32_e32 v11, s19
	v_sub_co_u32_e32 v7, vcc, v5, v7
	v_subb_co_u32_e64 v10, s[0:1], v10, v11, vcc
	v_subrev_co_u32_e64 v11, s[0:1], s18, v7
	v_subbrev_co_u32_e64 v10, s[0:1], 0, v10, s[0:1]
	v_cmp_le_u32_e64 s[0:1], s19, v10
	v_cndmask_b32_e64 v12, 0, -1, s[0:1]
	v_cmp_le_u32_e64 s[0:1], s18, v11
	v_cndmask_b32_e64 v11, 0, -1, s[0:1]
	v_cmp_eq_u32_e64 s[0:1], s19, v10
	v_cndmask_b32_e64 v10, v12, v11, s[0:1]
	v_add_co_u32_e64 v11, s[0:1], 2, v4
	v_addc_co_u32_e64 v12, s[0:1], 0, v9, s[0:1]
	v_add_co_u32_e64 v13, s[0:1], 1, v4
	v_addc_co_u32_e64 v14, s[0:1], 0, v9, s[0:1]
	v_subb_co_u32_e32 v8, vcc, v6, v8, vcc
	v_cmp_ne_u32_e64 s[0:1], 0, v10
	v_cmp_le_u32_e32 vcc, s19, v8
	v_cndmask_b32_e64 v10, v14, v12, s[0:1]
	v_cndmask_b32_e64 v12, 0, -1, vcc
	v_cmp_le_u32_e32 vcc, s18, v7
	v_cndmask_b32_e64 v7, 0, -1, vcc
	v_cmp_eq_u32_e32 vcc, s19, v8
	v_cndmask_b32_e32 v7, v12, v7, vcc
	v_cmp_ne_u32_e32 vcc, 0, v7
	v_cndmask_b32_e64 v7, v13, v11, s[0:1]
	v_cndmask_b32_e32 v8, v9, v10, vcc
	v_cndmask_b32_e32 v7, v4, v7, vcc
.LBB0_4:                                ;   in Loop: Header=BB0_2 Depth=1
	s_andn2_saveexec_b64 s[0:1], s[20:21]
	s_cbranch_execz .LBB0_6
; %bb.5:                                ;   in Loop: Header=BB0_2 Depth=1
	v_cvt_f32_u32_e32 v4, s18
	s_sub_i32 s20, 0, s18
	v_rcp_iflag_f32_e32 v4, v4
	v_mul_f32_e32 v4, 0x4f7ffffe, v4
	v_cvt_u32_f32_e32 v4, v4
	v_mul_lo_u32 v7, s20, v4
	v_mul_hi_u32 v7, v4, v7
	v_add_u32_e32 v4, v4, v7
	v_mul_hi_u32 v4, v5, v4
	v_mul_lo_u32 v7, v4, s18
	v_add_u32_e32 v8, 1, v4
	v_sub_u32_e32 v7, v5, v7
	v_subrev_u32_e32 v9, s18, v7
	v_cmp_le_u32_e32 vcc, s18, v7
	v_cndmask_b32_e32 v7, v7, v9, vcc
	v_cndmask_b32_e32 v4, v4, v8, vcc
	v_add_u32_e32 v8, 1, v4
	v_cmp_le_u32_e32 vcc, s18, v7
	v_cndmask_b32_e32 v7, v4, v8, vcc
	v_mov_b32_e32 v8, v3
.LBB0_6:                                ;   in Loop: Header=BB0_2 Depth=1
	s_or_b64 exec, exec, s[0:1]
	v_mul_lo_u32 v4, v8, s18
	v_mul_lo_u32 v11, v7, s19
	v_mad_u64_u32 v[9:10], s[0:1], v7, s18, 0
	s_load_dwordx2 s[0:1], s[6:7], 0x0
	s_add_u32 s16, s16, 1
	v_add3_u32 v4, v10, v11, v4
	v_sub_co_u32_e32 v5, vcc, v5, v9
	v_subb_co_u32_e32 v4, vcc, v6, v4, vcc
	s_waitcnt lgkmcnt(0)
	v_mul_lo_u32 v4, s0, v4
	v_mul_lo_u32 v6, s1, v5
	v_mad_u64_u32 v[1:2], s[0:1], s0, v5, v[1:2]
	s_addc_u32 s17, s17, 0
	s_add_u32 s6, s6, 8
	v_add3_u32 v2, v6, v2, v4
	v_mov_b32_e32 v4, s10
	v_mov_b32_e32 v5, s11
	s_addc_u32 s7, s7, 0
	v_cmp_ge_u64_e32 vcc, s[16:17], v[4:5]
	s_add_u32 s14, s14, 8
	s_addc_u32 s15, s15, 0
	s_cbranch_vccnz .LBB0_9
; %bb.7:                                ;   in Loop: Header=BB0_2 Depth=1
	v_mov_b32_e32 v5, v7
	v_mov_b32_e32 v6, v8
	s_branch .LBB0_2
.LBB0_8:
	v_mov_b32_e32 v8, v6
	v_mov_b32_e32 v7, v5
.LBB0_9:
	s_lshl_b64 s[0:1], s[10:11], 3
	s_add_u32 s0, s2, s0
	s_addc_u32 s1, s3, s1
	s_load_dwordx2 s[2:3], s[0:1], 0x0
	s_load_dwordx2 s[6:7], s[4:5], 0x20
                                        ; implicit-def: $vgpr10
                                        ; implicit-def: $vgpr30
                                        ; implicit-def: $vgpr38
                                        ; implicit-def: $vgpr14
                                        ; implicit-def: $vgpr12
                                        ; implicit-def: $vgpr31
                                        ; implicit-def: $vgpr39
                                        ; implicit-def: $vgpr9
                                        ; implicit-def: $vgpr35
                                        ; implicit-def: $vgpr27
                                        ; implicit-def: $vgpr41
                                        ; implicit-def: $vgpr6
                                        ; implicit-def: $vgpr43
                                        ; implicit-def: $vgpr11
                                        ; implicit-def: $vgpr42
                                        ; implicit-def: $vgpr36
                                        ; implicit-def: $vgpr44
                                        ; implicit-def: $vgpr45
                                        ; implicit-def: $vgpr13
                                        ; implicit-def: $vgpr26
                                        ; implicit-def: $vgpr37
                                        ; implicit-def: $vgpr28
                                        ; implicit-def: $vgpr19
                                        ; implicit-def: $vgpr29
                                        ; implicit-def: $vgpr25
	s_waitcnt lgkmcnt(0)
	v_mad_u64_u32 v[1:2], s[0:1], s2, v7, v[1:2]
	v_mul_lo_u32 v3, s2, v8
	v_mul_lo_u32 v4, s3, v7
	s_mov_b32 s0, 0x5050506
	v_mul_hi_u32 v5, v0, s0
	v_cmp_gt_u64_e32 vcc, s[6:7], v[7:8]
	v_add3_u32 v2, v4, v2, v3
	v_lshlrev_b64 v[2:3], 2, v[1:2]
	v_mul_u32_u24_e32 v4, 51, v5
	v_sub_u32_e32 v0, v0, v4
                                        ; implicit-def: $vgpr4
                                        ; implicit-def: $vgpr8
                                        ; implicit-def: $vgpr5
                                        ; implicit-def: $vgpr1
                                        ; implicit-def: $vgpr7
	s_and_saveexec_b64 s[2:3], vcc
	s_cbranch_execz .LBB0_13
; %bb.10:
	v_mov_b32_e32 v1, 0
	v_mov_b32_e32 v4, s13
	v_add_co_u32_e64 v6, s[0:1], s12, v2
	v_addc_co_u32_e64 v7, s[0:1], v4, v3, s[0:1]
	v_lshlrev_b64 v[4:5], 2, v[0:1]
                                        ; implicit-def: $vgpr25
                                        ; implicit-def: $vgpr29
                                        ; implicit-def: $vgpr19
                                        ; implicit-def: $vgpr28
                                        ; implicit-def: $vgpr37
                                        ; implicit-def: $vgpr26
	v_add_co_u32_e64 v4, s[0:1], v6, v4
	v_addc_co_u32_e64 v5, s[0:1], v7, v5, s[0:1]
	global_load_dword v10, v[4:5], off
	global_load_dword v12, v[4:5], off offset:204
	global_load_dword v27, v[4:5], off offset:408
	;; [unrolled: 1-line block ×11, first 2 shown]
	v_cmp_gt_u32_e64 s[0:1], 34, v0
	s_and_saveexec_b64 s[4:5], s[0:1]
	s_cbranch_execz .LBB0_12
; %bb.11:
	global_load_dword v37, v[4:5], off offset:816
	global_load_dword v19, v[4:5], off offset:1768
	;; [unrolled: 1-line block ×3, first 2 shown]
	s_waitcnt vmcnt(2)
	v_lshrrev_b32_e32 v26, 16, v37
	s_waitcnt vmcnt(1)
	v_lshrrev_b32_e32 v28, 16, v19
	;; [unrolled: 2-line block ×3, first 2 shown]
.LBB0_12:
	s_or_b64 exec, exec, s[4:5]
	s_waitcnt vmcnt(11)
	v_lshrrev_b32_e32 v4, 16, v10
	s_waitcnt vmcnt(5)
	v_lshrrev_b32_e32 v30, 16, v8
	;; [unrolled: 2-line block ×3, first 2 shown]
	v_lshrrev_b32_e32 v5, 16, v12
	v_lshrrev_b32_e32 v31, 16, v1
	s_waitcnt vmcnt(2)
	v_lshrrev_b32_e32 v39, 16, v9
	v_lshrrev_b32_e32 v35, 16, v27
	v_lshrrev_b32_e32 v41, 16, v6
	s_waitcnt vmcnt(1)
	v_lshrrev_b32_e32 v43, 16, v11
	;; [unrolled: 4-line block ×3, first 2 shown]
.LBB0_13:
	s_or_b64 exec, exec, s[2:3]
	v_add_f16_e32 v15, v8, v14
	v_fma_f16 v15, v15, -0.5, v10
	v_sub_f16_e32 v16, v30, v38
	s_mov_b32 s0, 0xbaee
	s_movk_i32 s1, 0x3aee
	v_fma_f16 v24, v16, s0, v15
	v_fma_f16 v20, v16, s1, v15
	v_add_f16_e32 v15, v1, v9
	v_fma_f16 v15, v15, -0.5, v12
	v_sub_f16_e32 v16, v31, v39
	v_fma_f16 v22, v16, s0, v15
	v_fma_f16 v18, v16, s1, v15
	v_add_f16_e32 v15, v6, v11
	v_fma_f16 v15, v15, -0.5, v27
	v_sub_f16_e32 v16, v41, v43
	;; [unrolled: 5-line block ×4, first 2 shown]
	v_add_f16_e32 v10, v10, v8
	v_fma_f16 v32, v33, s0, v15
	v_fma_f16 v34, v33, s1, v15
	v_add_f16_e32 v15, v10, v14
	v_add_f16_e32 v10, v12, v1
	v_add_f16_e32 v40, v10, v9
	v_add_f16_e32 v10, v27, v6
	v_add_f16_e32 v33, v10, v11
	v_add_f16_e32 v10, v36, v7
	v_add_f16_e32 v12, v10, v13
	v_add_f16_e32 v10, v37, v19
	v_add_f16_e32 v27, v10, v25
	v_mad_u32_u24 v47, v0, 6, 0
	v_cmp_gt_u32_e64 s[2:3], 34, v0
	ds_write_b16 v47, v15
	ds_write_b16 v47, v24 offset:2
	ds_write_b16 v47, v20 offset:4
	;; [unrolled: 1-line block ×11, first 2 shown]
	s_and_saveexec_b64 s[0:1], s[2:3]
	s_cbranch_execz .LBB0_15
; %bb.14:
	ds_write_b16 v47, v27 offset:1224
	ds_write_b16 v47, v32 offset:1226
	;; [unrolled: 1-line block ×3, first 2 shown]
.LBB0_15:
	s_or_b64 exec, exec, s[0:1]
	v_cmp_gt_u32_e64 s[0:1], 42, v0
	s_waitcnt lgkmcnt(0)
	; wave barrier
	s_waitcnt lgkmcnt(0)
                                        ; implicit-def: $vgpr36
                                        ; implicit-def: $vgpr37
	s_and_saveexec_b64 s[4:5], s[0:1]
	s_cbranch_execz .LBB0_17
; %bb.16:
	v_lshlrev_b32_e32 v10, 2, v0
	v_sub_u32_e32 v10, v47, v10
	ds_read_u16 v15, v10
	ds_read_u16 v24, v10 offset:84
	ds_read_u16 v20, v10 offset:168
	;; [unrolled: 1-line block ×16, first 2 shown]
.LBB0_17:
	s_or_b64 exec, exec, s[4:5]
	v_add_f16_e32 v10, v4, v30
	v_add_f16_e32 v30, v30, v38
	v_fma_f16 v4, v30, -0.5, v4
	v_sub_f16_e32 v8, v8, v14
	s_movk_i32 s4, 0x3aee
	s_mov_b32 s5, 0xbaee
	v_fma_f16 v50, v8, s4, v4
	v_fma_f16 v49, v8, s5, v4
	v_add_f16_e32 v4, v5, v31
	v_add_f16_e32 v14, v4, v39
	v_add_f16_e32 v4, v31, v39
	v_fma_f16 v4, v4, -0.5, v5
	v_sub_f16_e32 v1, v1, v9
	v_fma_f16 v48, v1, s4, v4
	v_fma_f16 v9, v1, s5, v4
	v_add_f16_e32 v1, v35, v41
	v_add_f16_e32 v8, v1, v43
	v_add_f16_e32 v1, v41, v43
	v_fma_f16 v1, v1, -0.5, v35
	v_sub_f16_e32 v4, v6, v11
	;; [unrolled: 7-line block ×4, first 2 shown]
	v_add_f16_e32 v10, v10, v38
	v_fma_f16 v38, v4, s4, v1
	v_fma_f16 v35, v4, s5, v1
	s_waitcnt lgkmcnt(0)
	; wave barrier
	s_waitcnt lgkmcnt(0)
	ds_write_b16 v47, v10
	ds_write_b16 v47, v50 offset:2
	ds_write_b16 v47, v49 offset:4
	;; [unrolled: 1-line block ×11, first 2 shown]
	s_and_saveexec_b64 s[4:5], s[2:3]
	s_cbranch_execz .LBB0_19
; %bb.18:
	ds_write_b16 v47, v42 offset:1224
	ds_write_b16 v47, v38 offset:1226
	;; [unrolled: 1-line block ×3, first 2 shown]
.LBB0_19:
	s_or_b64 exec, exec, s[4:5]
	v_lshl_add_u32 v4, v0, 1, 0
	s_waitcnt lgkmcnt(0)
	; wave barrier
	s_waitcnt lgkmcnt(0)
                                        ; implicit-def: $vgpr39
                                        ; implicit-def: $vgpr41
	s_and_saveexec_b64 s[2:3], s[0:1]
	s_cbranch_execz .LBB0_21
; %bb.20:
	ds_read_u16 v10, v4
	ds_read_u16 v50, v4 offset:84
	ds_read_u16 v49, v4 offset:168
	;; [unrolled: 1-line block ×16, first 2 shown]
.LBB0_21:
	s_or_b64 exec, exec, s[2:3]
	s_movk_i32 s2, 0xab
	v_mul_lo_u16_sdwa v1, v0, s2 dst_sel:DWORD dst_unused:UNUSED_PAD src0_sel:BYTE_0 src1_sel:DWORD
	v_lshrrev_b16_e32 v1, 9, v1
	v_mul_lo_u16_e32 v5, 3, v1
	v_sub_u16_e32 v5, v0, v5
	v_mov_b32_e32 v7, 6
	v_lshlrev_b32_sdwa v26, v7, v5 dst_sel:DWORD dst_unused:UNUSED_PAD src0_sel:DWORD src1_sel:BYTE_0
	global_load_dwordx4 v[51:54], v26, s[8:9]
	global_load_dwordx4 v[55:58], v26, s[8:9] offset:16
	s_waitcnt vmcnt(1) lgkmcnt(14)
	v_mul_f16_sdwa v7, v50, v51 dst_sel:DWORD dst_unused:UNUSED_PAD src0_sel:DWORD src1_sel:WORD_1
	v_fma_f16 v30, v24, v51, v7
	v_mul_f16_sdwa v7, v24, v51 dst_sel:DWORD dst_unused:UNUSED_PAD src0_sel:DWORD src1_sel:WORD_1
	v_fma_f16 v31, v50, v51, -v7
	v_mul_f16_sdwa v7, v49, v52 dst_sel:DWORD dst_unused:UNUSED_PAD src0_sel:DWORD src1_sel:WORD_1
	v_fma_f16 v28, v20, v52, v7
	v_mul_f16_sdwa v7, v20, v52 dst_sel:DWORD dst_unused:UNUSED_PAD src0_sel:DWORD src1_sel:WORD_1
	v_fma_f16 v29, v49, v52, -v7
	s_waitcnt lgkmcnt(13)
	v_mul_f16_sdwa v7, v14, v53 dst_sel:DWORD dst_unused:UNUSED_PAD src0_sel:DWORD src1_sel:WORD_1
	v_fma_f16 v24, v40, v53, v7
	v_mul_f16_sdwa v7, v40, v53 dst_sel:DWORD dst_unused:UNUSED_PAD src0_sel:DWORD src1_sel:WORD_1
	v_fma_f16 v25, v14, v53, -v7
	s_waitcnt lgkmcnt(12)
	v_mul_f16_sdwa v7, v48, v54 dst_sel:DWORD dst_unused:UNUSED_PAD src0_sel:DWORD src1_sel:WORD_1
	v_fma_f16 v20, v22, v54, v7
	v_mul_f16_sdwa v7, v22, v54 dst_sel:DWORD dst_unused:UNUSED_PAD src0_sel:DWORD src1_sel:WORD_1
	v_fma_f16 v22, v48, v54, -v7
	global_load_dwordx4 v[47:50], v26, s[8:9] offset:32
	global_load_dwordx4 v[51:54], v26, s[8:9] offset:48
	s_waitcnt vmcnt(2) lgkmcnt(11)
	v_mul_f16_sdwa v7, v9, v55 dst_sel:DWORD dst_unused:UNUSED_PAD src0_sel:DWORD src1_sel:WORD_1
	v_mul_f16_sdwa v13, v18, v55 dst_sel:DWORD dst_unused:UNUSED_PAD src0_sel:DWORD src1_sel:WORD_1
	s_waitcnt lgkmcnt(10)
	v_mul_f16_sdwa v14, v8, v56 dst_sel:DWORD dst_unused:UNUSED_PAD src0_sel:DWORD src1_sel:WORD_1
	v_fma_f16 v18, v18, v55, v7
	v_mul_f16_sdwa v7, v33, v56 dst_sel:DWORD dst_unused:UNUSED_PAD src0_sel:DWORD src1_sel:WORD_1
	v_fma_f16 v19, v9, v55, -v13
	s_waitcnt lgkmcnt(9)
	v_mul_f16_sdwa v9, v6, v57 dst_sel:DWORD dst_unused:UNUSED_PAD src0_sel:DWORD src1_sel:WORD_1
	v_fma_f16 v13, v33, v56, v14
	v_mul_f16_sdwa v33, v21, v57 dst_sel:DWORD dst_unused:UNUSED_PAD src0_sel:DWORD src1_sel:WORD_1
	v_fma_f16 v14, v8, v56, -v7
	;; [unrolled: 5-line block ×3, first 2 shown]
	v_fma_f16 v6, v16, v58, v7
	v_fma_f16 v7, v11, v58, -v21
	s_waitcnt lgkmcnt(0)
	; wave barrier
	s_waitcnt vmcnt(1) lgkmcnt(0)
	v_mul_f16_sdwa v26, v42, v50 dst_sel:DWORD dst_unused:UNUSED_PAD src0_sel:DWORD src1_sel:WORD_1
	v_mul_f16_sdwa v16, v44, v48 dst_sel:DWORD dst_unused:UNUSED_PAD src0_sel:DWORD src1_sel:WORD_1
	;; [unrolled: 1-line block ×3, first 2 shown]
	v_fma_f16 v26, v27, v50, v26
	v_mul_f16_sdwa v27, v27, v50 dst_sel:DWORD dst_unused:UNUSED_PAD src0_sel:DWORD src1_sel:WORD_1
	v_mul_f16_sdwa v11, v46, v47 dst_sel:DWORD dst_unused:UNUSED_PAD src0_sel:DWORD src1_sel:WORD_1
	v_fma_f16 v16, v17, v48, v16
	v_mul_f16_sdwa v17, v17, v48 dst_sel:DWORD dst_unused:UNUSED_PAD src0_sel:DWORD src1_sel:WORD_1
	v_fma_f16 v21, v23, v49, v21
	v_mul_f16_sdwa v23, v23, v49 dst_sel:DWORD dst_unused:UNUSED_PAD src0_sel:DWORD src1_sel:WORD_1
	v_fma_f16 v27, v42, v50, -v27
	s_waitcnt vmcnt(0)
	v_mul_f16_sdwa v33, v38, v51 dst_sel:DWORD dst_unused:UNUSED_PAD src0_sel:DWORD src1_sel:WORD_1
	v_mul_f16_sdwa v40, v32, v51 dst_sel:DWORD dst_unused:UNUSED_PAD src0_sel:DWORD src1_sel:WORD_1
	v_mul_f16_sdwa v42, v35, v52 dst_sel:DWORD dst_unused:UNUSED_PAD src0_sel:DWORD src1_sel:WORD_1
	v_fma_f16 v11, v12, v47, v11
	v_mul_f16_sdwa v12, v12, v47 dst_sel:DWORD dst_unused:UNUSED_PAD src0_sel:DWORD src1_sel:WORD_1
	v_fma_f16 v17, v44, v48, -v17
	v_fma_f16 v23, v43, v49, -v23
	v_mul_f16_sdwa v43, v34, v52 dst_sel:DWORD dst_unused:UNUSED_PAD src0_sel:DWORD src1_sel:WORD_1
	v_fma_f16 v32, v32, v51, v33
	v_mul_f16_sdwa v44, v41, v53 dst_sel:DWORD dst_unused:UNUSED_PAD src0_sel:DWORD src1_sel:WORD_1
	v_fma_f16 v33, v38, v51, -v40
	v_mul_f16_sdwa v38, v37, v53 dst_sel:DWORD dst_unused:UNUSED_PAD src0_sel:DWORD src1_sel:WORD_1
	v_fma_f16 v34, v34, v52, v42
	v_mul_f16_sdwa v40, v39, v54 dst_sel:DWORD dst_unused:UNUSED_PAD src0_sel:DWORD src1_sel:WORD_1
	v_mul_f16_sdwa v42, v36, v54 dst_sel:DWORD dst_unused:UNUSED_PAD src0_sel:DWORD src1_sel:WORD_1
	v_fma_f16 v12, v46, v47, -v12
	v_fma_f16 v35, v35, v52, -v43
	v_fma_f16 v37, v37, v53, v44
	v_fma_f16 v38, v41, v53, -v38
	v_fma_f16 v51, v36, v54, v40
	v_fma_f16 v52, v39, v54, -v42
	s_and_saveexec_b64 s[2:3], s[0:1]
	s_cbranch_execz .LBB0_23
; %bb.22:
	v_sub_f16_e32 v39, v31, v52
	v_add_f16_e32 v36, v30, v51
	v_mul_f16_e32 v40, 0xb1e1, v39
	s_mov_b32 s4, 0xbbdd
	v_sub_f16_e32 v43, v29, v38
	v_fma_f16 v41, v36, s4, -v40
	v_add_f16_e32 v42, v28, v37
	v_mul_f16_e32 v44, 0x35c8, v43
	s_movk_i32 s7, 0x3b76
	v_add_f16_e32 v41, v15, v41
	v_fma_f16 v45, v42, s7, -v44
	v_sub_f16_e32 v46, v25, v35
	v_add_f16_e32 v41, v45, v41
	v_add_f16_e32 v45, v24, v34
	v_mul_f16_e32 v47, 0xb836, v46
	s_mov_b32 s5, 0xbacd
	v_fma_f16 v48, v45, s5, -v47
	v_sub_f16_e32 v49, v22, v33
	v_add_f16_e32 v41, v48, v41
	v_add_f16_e32 v48, v20, v32
	v_mul_f16_e32 v50, 0x3964, v49
	s_movk_i32 s11, 0x39e9
	v_fma_f16 v53, v48, s11, -v50
	v_sub_f16_e32 v54, v19, v27
	v_add_f16_e32 v41, v53, v41
	v_add_f16_e32 v53, v18, v26
	v_mul_f16_e32 v55, 0xba62, v54
	s_mov_b32 s6, 0xb8d2
	v_fma_f16 v40, v36, s4, v40
	v_fma_f16 v56, v53, s6, -v55
	v_sub_f16_e32 v57, v14, v23
	v_add_f16_e32 v40, v15, v40
	v_fma_f16 v44, v42, s7, v44
	v_add_f16_e32 v41, v56, v41
	v_add_f16_e32 v56, v13, v21
	s_movk_i32 s14, 0x3722
	v_mul_f16_e32 v58, 0x3b29, v57
	v_add_f16_e32 v40, v44, v40
	v_fma_f16 v44, v45, s5, v47
	v_fma_f16 v59, v56, s14, -v58
	v_sub_f16_e32 v60, v9, v17
	v_add_f16_e32 v40, v44, v40
	v_fma_f16 v44, v48, s11, v50
	v_add_f16_e32 v41, v59, v41
	s_mov_b32 s10, 0xb461
	v_add_f16_e32 v59, v8, v16
	v_mul_f16_e32 v61, 0xbbb2, v60
	v_add_f16_e32 v40, v44, v40
	v_fma_f16 v44, v53, s6, v55
	v_fma_f16 v62, v59, s10, -v61
	v_sub_f16_e32 v63, v7, v12
	v_add_f16_e32 v40, v44, v40
	v_fma_f16 v44, v56, s14, v58
	v_add_f16_e32 v41, v62, v41
	s_movk_i32 s15, 0x2de8
	v_add_f16_e32 v62, v6, v11
	v_mul_f16_e32 v64, 0x3bf7, v63
	v_add_f16_e32 v40, v44, v40
	v_fma_f16 v44, v59, s10, v61
	v_add_f16_e32 v40, v44, v40
	v_fma_f16 v44, v62, s15, v64
	v_add_f16_e32 v40, v44, v40
	v_mul_f16_e32 v44, 0xb836, v39
	v_fma_f16 v47, v36, s5, -v44
	v_mul_f16_e32 v50, 0x3b29, v43
	v_add_f16_e32 v47, v15, v47
	v_fma_f16 v55, v42, s14, -v50
	v_add_f16_e32 v47, v55, v47
	v_mul_f16_e32 v55, 0xbbf7, v46
	v_fma_f16 v58, v45, s15, -v55
	v_add_f16_e32 v47, v58, v47
	v_mul_f16_e32 v58, 0x3a62, v49
	v_fma_f16 v61, v48, s6, -v58
	v_add_f16_e32 v47, v61, v47
	v_mul_f16_e32 v61, 0xb5c8, v54
	v_fma_f16 v44, v36, s5, v44
	v_fma_f16 v65, v62, s15, -v64
	v_fma_f16 v64, v53, s7, -v61
	v_add_f16_e32 v44, v15, v44
	v_fma_f16 v50, v42, s14, v50
	v_add_f16_e32 v47, v64, v47
	v_mul_f16_e32 v64, 0xb1e1, v57
	v_add_f16_e32 v44, v50, v44
	v_fma_f16 v50, v45, s15, v55
	v_add_f16_e32 v41, v65, v41
	v_fma_f16 v65, v56, s4, -v64
	v_add_f16_e32 v44, v50, v44
	v_fma_f16 v50, v48, s6, v58
	v_add_f16_e32 v47, v65, v47
	v_mul_f16_e32 v65, 0x3964, v60
	v_add_f16_e32 v44, v50, v44
	v_fma_f16 v50, v53, s7, v61
	v_fma_f16 v66, v59, s11, -v65
	v_add_f16_e32 v44, v50, v44
	v_fma_f16 v50, v56, s4, v64
	v_add_f16_e32 v47, v66, v47
	v_mul_f16_e32 v66, 0xbbb2, v63
	v_add_f16_e32 v44, v50, v44
	v_fma_f16 v50, v59, s11, v65
	v_add_f16_e32 v44, v50, v44
	v_fma_f16 v50, v62, s10, v66
	v_add_f16_e32 v44, v50, v44
	v_mul_f16_e32 v50, 0xba62, v39
	v_fma_f16 v55, v36, s6, -v50
	v_mul_f16_e32 v58, 0x3bb2, v43
	v_add_f16_e32 v55, v15, v55
	v_fma_f16 v61, v42, s10, -v58
	v_add_f16_e32 v55, v61, v55
	v_mul_f16_e32 v61, 0xb5c8, v46
	v_fma_f16 v64, v45, s7, -v61
	v_add_f16_e32 v55, v64, v55
	v_mul_f16_e32 v64, 0xb836, v49
	v_fma_f16 v65, v48, s5, -v64
	v_add_f16_e32 v55, v65, v55
	v_mul_f16_e32 v65, 0x3bf7, v54
	v_fma_f16 v50, v36, s6, v50
	v_fma_f16 v67, v62, s10, -v66
	v_fma_f16 v66, v53, s15, -v65
	v_add_f16_e32 v50, v15, v50
	v_fma_f16 v58, v42, s10, v58
	v_add_f16_e32 v55, v66, v55
	v_mul_f16_e32 v66, 0xb964, v57
	v_add_f16_e32 v50, v58, v50
	v_fma_f16 v58, v45, s7, v61
	v_add_f16_e32 v47, v67, v47
	v_fma_f16 v67, v56, s11, -v66
	v_add_f16_e32 v50, v58, v50
	v_fma_f16 v58, v48, s5, v64
	v_add_f16_e32 v55, v67, v55
	v_mul_f16_e32 v67, 0xb1e1, v60
	v_add_f16_e32 v50, v58, v50
	v_fma_f16 v58, v53, s15, v65
	v_fma_f16 v68, v59, s4, -v67
	v_add_f16_e32 v50, v58, v50
	v_fma_f16 v58, v56, s11, v66
	;; [unrolled: 40-line block ×6, first 2 shown]
	v_add_f16_e32 v69, v76, v69
	v_mul_f16_e32 v76, 0x35c8, v63
	v_add_f16_e32 v68, v70, v68
	v_fma_f16 v70, v59, s14, v75
	v_add_f16_e32 v68, v70, v68
	v_fma_f16 v70, v62, s7, v76
	v_mul_f16_e32 v39, 0xb5c8, v39
	v_add_f16_e32 v68, v70, v68
	v_fma_f16 v70, v36, s7, -v39
	v_fma_f16 v36, v36, s7, v39
	v_add_f16_e32 v70, v15, v70
	v_add_f16_e32 v36, v15, v36
	;; [unrolled: 1-line block ×8, first 2 shown]
	v_mul_f16_e32 v43, 0xb964, v43
	v_add_f16_e32 v15, v15, v8
	v_mul_f16_e32 v46, 0xbb29, v46
	v_fma_f16 v39, v42, s11, v43
	v_add_f16_e32 v15, v15, v6
	v_mul_f16_e32 v49, 0xbbf7, v49
	v_add_f16_e32 v36, v39, v36
	v_fma_f16 v39, v45, s14, v46
	v_add_f16_e32 v15, v15, v11
	v_fma_f16 v71, v42, s11, -v43
	v_mul_f16_e32 v54, 0xbbb2, v54
	v_add_f16_e32 v36, v39, v36
	v_fma_f16 v39, v48, s15, v49
	v_add_f16_e32 v15, v15, v16
	v_add_f16_e32 v70, v71, v70
	v_fma_f16 v71, v45, s14, -v46
	v_mul_f16_e32 v57, 0xba62, v57
	v_add_f16_e32 v36, v39, v36
	v_fma_f16 v39, v53, s10, v54
	v_add_f16_e32 v15, v15, v21
	;; [unrolled: 6-line block ×4, first 2 shown]
	v_add_f16_e32 v70, v71, v70
	v_fma_f16 v71, v56, s6, -v57
	v_add_f16_e32 v36, v39, v36
	v_add_f16_e32 v15, v15, v34
	v_fma_f16 v39, v62, s4, v63
	v_mov_b32_e32 v42, 1
	v_add_f16_e32 v70, v71, v70
	v_fma_f16 v71, v59, s5, -v60
	v_add_f16_e32 v15, v15, v37
	v_add_f16_e32 v36, v39, v36
	v_mul_u32_u24_e32 v39, 0x66, v1
	v_lshlrev_b32_sdwa v42, v42, v5 dst_sel:DWORD dst_unused:UNUSED_PAD src0_sel:DWORD src1_sel:BYTE_0
	v_fma_f16 v77, v62, s7, -v76
	v_add_f16_e32 v70, v71, v70
	v_fma_f16 v71, v62, s4, -v63
	v_add_f16_e32 v15, v15, v51
	v_add3_u32 v39, 0, v39, v42
	v_add_f16_e32 v69, v77, v69
	v_add_f16_e32 v70, v71, v70
	ds_write_b16 v39, v15
	ds_write_b16 v39, v36 offset:6
	ds_write_b16 v39, v68 offset:12
	;; [unrolled: 1-line block ×16, first 2 shown]
.LBB0_23:
	s_or_b64 exec, exec, s[2:3]
	s_waitcnt lgkmcnt(0)
	; wave barrier
	s_waitcnt lgkmcnt(0)
	ds_read_u16 v36, v4
	ds_read_u16 v41, v4 offset:816
	ds_read_u16 v39, v4 offset:714
	;; [unrolled: 1-line block ×13, first 2 shown]
	v_mul_u32_u24_e32 v53, 6, v0
	s_waitcnt lgkmcnt(0)
	; wave barrier
	s_waitcnt lgkmcnt(0)
	s_and_saveexec_b64 s[2:3], s[0:1]
	s_cbranch_execz .LBB0_25
; %bb.24:
	v_add_f16_e32 v54, v10, v31
	v_add_f16_e32 v54, v54, v29
	;; [unrolled: 1-line block ×16, first 2 shown]
	v_sub_f16_e32 v30, v30, v51
	v_mul_f16_e32 v51, 0x3b76, v31
	s_movk_i32 s7, 0x35c8
	s_mov_b32 s11, 0xb5c8
	v_mul_f16_e32 v55, 0x39e9, v31
	s_movk_i32 s5, 0x3964
	s_mov_b32 s10, 0xb964
	;; [unrolled: 3-line block ×8, first 2 shown]
	v_add_f16_e32 v54, v54, v52
	v_fma_f16 v52, v30, s7, v51
	v_fma_f16 v51, v30, s11, v51
	;; [unrolled: 1-line block ×16, first 2 shown]
	v_add_f16_e32 v29, v29, v38
	v_add_f16_e32 v52, v10, v52
	v_add_f16_e32 v51, v10, v51
	v_add_f16_e32 v56, v10, v56
	v_add_f16_e32 v55, v10, v55
	v_add_f16_e32 v58, v10, v58
	v_add_f16_e32 v57, v10, v57
	v_add_f16_e32 v60, v10, v60
	v_add_f16_e32 v59, v10, v59
	v_add_f16_e32 v62, v10, v62
	v_add_f16_e32 v61, v10, v61
	v_add_f16_e32 v64, v10, v64
	v_add_f16_e32 v63, v10, v63
	v_add_f16_e32 v66, v10, v66
	v_add_f16_e32 v65, v10, v65
	v_add_f16_e32 v67, v10, v67
	v_add_f16_e32 v10, v10, v30
	v_sub_f16_e32 v28, v28, v37
	v_mul_f16_e32 v30, 0x39e9, v29
	v_fma_f16 v31, v28, s5, v30
	v_fma_f16 v30, v28, s10, v30
	v_mul_f16_e32 v37, 0x2de8, v29
	v_add_f16_e32 v30, v30, v51
	v_fma_f16 v38, v28, s0, v37
	v_fma_f16 v37, v28, s4, v37
	v_mul_f16_e32 v51, 0xb8d2, v29
	v_add_f16_e32 v31, v31, v52
	v_add_f16_e32 v37, v37, v55
	v_fma_f16 v52, v28, s16, v51
	v_fma_f16 v51, v28, s17, v51
	v_mul_f16_e32 v55, 0xbbdd, v29
	v_add_f16_e32 v38, v38, v56
	;; [unrolled: 5-line block ×4, first 2 shown]
	v_add_f16_e32 v57, v57, v61
	v_fma_f16 v60, v28, s15, v59
	v_fma_f16 v59, v28, s14, v59
	v_mul_f16_e32 v61, 0x3722, v29
	v_mul_f16_e32 v29, 0x3b76, v29
	v_add_f16_e32 v58, v58, v62
	v_add_f16_e32 v59, v59, v63
	v_fma_f16 v62, v28, s6, v61
	v_fma_f16 v61, v28, s1, v61
	;; [unrolled: 1-line block ×4, first 2 shown]
	v_add_f16_e32 v25, v25, v35
	v_add_f16_e32 v10, v28, v10
	v_sub_f16_e32 v24, v24, v34
	v_mul_f16_e32 v28, 0x3722, v25
	v_fma_f16 v29, v24, s1, v28
	v_fma_f16 v28, v24, s6, v28
	v_add_f16_e32 v28, v28, v30
	v_mul_f16_e32 v30, 0xb8d2, v25
	v_add_f16_e32 v29, v29, v31
	v_fma_f16 v31, v24, s16, v30
	v_fma_f16 v30, v24, s17, v30
	v_mul_f16_e32 v34, 0xbbdd, v25
	v_add_f16_e32 v30, v30, v37
	v_fma_f16 v35, v24, s21, v34
	v_fma_f16 v34, v24, s20, v34
	v_mul_f16_e32 v37, 0xb461, v25
	v_add_f16_e32 v31, v31, v38
	v_add_f16_e32 v34, v34, v51
	v_fma_f16 v38, v24, s15, v37
	v_fma_f16 v37, v24, s14, v37
	v_mul_f16_e32 v51, 0x39e9, v25
	v_add_f16_e32 v35, v35, v52
	;; [unrolled: 5-line block ×3, first 2 shown]
	v_add_f16_e32 v51, v51, v57
	v_fma_f16 v56, v24, s7, v55
	v_fma_f16 v55, v24, s11, v55
	v_mul_f16_e32 v57, 0x2de8, v25
	v_mul_f16_e32 v25, 0xbacd, v25
	v_add_f16_e32 v52, v52, v58
	v_add_f16_e32 v55, v55, v59
	v_fma_f16 v58, v24, s0, v57
	v_fma_f16 v57, v24, s4, v57
	;; [unrolled: 1-line block ×4, first 2 shown]
	v_add_f16_e32 v22, v22, v33
	v_add_f16_e32 v10, v24, v10
	v_sub_f16_e32 v20, v20, v32
	v_mul_f16_e32 v24, 0x2de8, v22
	v_fma_f16 v25, v20, s0, v24
	v_fma_f16 v24, v20, s4, v24
	v_add_f16_e32 v24, v24, v28
	v_mul_f16_e32 v28, 0xbbdd, v22
	v_add_f16_e32 v25, v25, v29
	v_fma_f16 v29, v20, s20, v28
	v_fma_f16 v28, v20, s21, v28
	v_add_f16_e32 v28, v28, v30
	v_mul_f16_e32 v30, 0xb461, v22
	v_add_f16_e32 v29, v29, v31
	v_fma_f16 v31, v20, s15, v30
	v_fma_f16 v30, v20, s14, v30
	v_mul_f16_e32 v32, 0x3b76, v22
	v_add_f16_e32 v30, v30, v34
	v_fma_f16 v33, v20, s11, v32
	v_fma_f16 v32, v20, s7, v32
	v_mul_f16_e32 v34, 0x3722, v22
	v_add_f16_e32 v31, v31, v35
	v_add_f16_e32 v32, v32, v37
	v_fma_f16 v35, v20, s1, v34
	v_fma_f16 v34, v20, s6, v34
	v_mul_f16_e32 v37, 0xbacd, v22
	v_add_f16_e32 v33, v33, v38
	v_add_f16_e32 v34, v34, v51
	v_fma_f16 v38, v20, s18, v37
	v_fma_f16 v37, v20, s19, v37
	v_mul_f16_e32 v51, 0xb8d2, v22
	v_mul_f16_e32 v22, 0x39e9, v22
	v_add_f16_e32 v35, v35, v52
	v_add_f16_e32 v37, v37, v55
	v_fma_f16 v52, v20, s17, v51
	v_fma_f16 v51, v20, s16, v51
	;; [unrolled: 1-line block ×4, first 2 shown]
	v_add_f16_e32 v19, v19, v27
	v_add_f16_e32 v10, v20, v10
	v_sub_f16_e32 v18, v18, v26
	v_mul_f16_e32 v20, 0xb461, v19
	v_fma_f16 v22, v18, s14, v20
	v_fma_f16 v20, v18, s15, v20
	v_add_f16_e32 v20, v20, v24
	v_mul_f16_e32 v24, 0xbacd, v19
	v_add_f16_e32 v22, v22, v25
	v_fma_f16 v25, v18, s19, v24
	v_fma_f16 v24, v18, s18, v24
	v_mul_f16_e32 v26, 0x39e9, v19
	v_add_f16_e32 v24, v24, v28
	v_fma_f16 v27, v18, s10, v26
	v_fma_f16 v26, v18, s5, v26
	v_mul_f16_e32 v28, 0x3722, v19
	v_add_f16_e32 v25, v25, v29
	v_add_f16_e32 v26, v26, v30
	v_fma_f16 v29, v18, s1, v28
	v_fma_f16 v28, v18, s6, v28
	v_mul_f16_e32 v30, 0xbbdd, v19
	v_add_f16_e32 v27, v27, v31
	v_add_f16_e32 v28, v28, v32
	v_fma_f16 v31, v18, s20, v30
	v_fma_f16 v30, v18, s21, v30
	v_mul_f16_e32 v32, 0x2de8, v19
	v_add_f16_e32 v29, v29, v33
	v_add_f16_e32 v30, v30, v34
	v_fma_f16 v33, v18, s4, v32
	v_fma_f16 v32, v18, s0, v32
	v_mul_f16_e32 v34, 0x3b76, v19
	v_mul_f16_e32 v19, 0xb8d2, v19
	v_add_f16_e32 v31, v31, v35
	v_add_f16_e32 v32, v32, v37
	v_fma_f16 v35, v18, s7, v34
	v_fma_f16 v34, v18, s11, v34
	;; [unrolled: 1-line block ×4, first 2 shown]
	v_add_f16_e32 v14, v14, v23
	v_add_f16_e32 v10, v18, v10
	v_sub_f16_e32 v13, v13, v21
	v_mul_f16_e32 v18, 0xb8d2, v14
	v_fma_f16 v19, v13, s16, v18
	v_fma_f16 v18, v13, s17, v18
	v_add_f16_e32 v18, v18, v20
	v_mul_f16_e32 v20, 0xb461, v14
	v_add_f16_e32 v19, v19, v22
	v_fma_f16 v21, v13, s15, v20
	v_fma_f16 v20, v13, s14, v20
	v_mul_f16_e32 v22, 0x3b76, v14
	v_add_f16_e32 v20, v20, v24
	v_fma_f16 v23, v13, s7, v22
	v_fma_f16 v22, v13, s11, v22
	v_mul_f16_e32 v24, 0xbacd, v14
	v_add_f16_e32 v21, v21, v25
	v_add_f16_e32 v22, v22, v26
	v_fma_f16 v25, v13, s18, v24
	v_fma_f16 v24, v13, s19, v24
	v_mul_f16_e32 v26, 0x2de8, v14
	v_add_f16_e32 v23, v23, v27
	;; [unrolled: 5-line block ×3, first 2 shown]
	v_add_f16_e32 v26, v26, v30
	v_fma_f16 v29, v13, s5, v28
	v_fma_f16 v28, v13, s10, v28
	v_mul_f16_e32 v30, 0xbbdd, v14
	v_mul_f16_e32 v14, 0x3722, v14
	v_add_f16_e32 v27, v27, v31
	v_add_f16_e32 v28, v28, v32
	v_fma_f16 v31, v13, s20, v30
	v_fma_f16 v30, v13, s21, v30
	;; [unrolled: 1-line block ×4, first 2 shown]
	v_add_f16_e32 v9, v9, v17
	v_add_f16_e32 v10, v13, v10
	v_sub_f16_e32 v8, v8, v16
	v_mul_f16_e32 v13, 0xbacd, v9
	v_fma_f16 v14, v8, s18, v13
	v_fma_f16 v13, v8, s19, v13
	v_mul_f16_e32 v16, 0x3722, v9
	v_add_f16_e32 v13, v13, v18
	v_fma_f16 v17, v8, s6, v16
	v_fma_f16 v16, v8, s1, v16
	v_mul_f16_e32 v18, 0x2de8, v9
	v_add_f16_e32 v14, v14, v19
	v_add_f16_e32 v16, v16, v20
	v_fma_f16 v19, v8, s0, v18
	v_fma_f16 v18, v8, s4, v18
	v_mul_f16_e32 v20, 0xb8d2, v9
	v_add_f16_e32 v17, v17, v21
	;; [unrolled: 5-line block ×4, first 2 shown]
	v_add_f16_e32 v22, v22, v26
	v_fma_f16 v25, v8, s20, v24
	v_fma_f16 v24, v8, s21, v24
	v_mul_f16_e32 v26, 0x39e9, v9
	v_mul_f16_e32 v9, 0xb461, v9
	v_add_f16_e32 v7, v7, v12
	v_add_f16_e32 v23, v23, v27
	;; [unrolled: 1-line block ×3, first 2 shown]
	v_fma_f16 v27, v8, s10, v26
	v_fma_f16 v26, v8, s5, v26
	;; [unrolled: 1-line block ×4, first 2 shown]
	v_sub_f16_e32 v6, v6, v11
	v_mul_f16_e32 v9, 0xbbdd, v7
	v_add_f16_e32 v8, v8, v10
	v_fma_f16 v10, v6, s20, v9
	v_fma_f16 v9, v6, s21, v9
	v_mul_f16_e32 v11, 0x3b76, v7
	v_add_f16_e32 v9, v9, v13
	v_fma_f16 v12, v6, s11, v11
	v_fma_f16 v11, v6, s7, v11
	v_mul_f16_e32 v13, 0xbacd, v7
	v_add_f16_e32 v10, v10, v14
	v_add_f16_e32 v11, v11, v16
	v_fma_f16 v14, v6, s18, v13
	v_fma_f16 v13, v6, s19, v13
	v_mul_f16_e32 v16, 0x39e9, v7
	v_add_f16_e32 v60, v60, v64
	v_add_f16_e32 v62, v62, v66
	v_add_f16_e32 v61, v61, v65
	v_add_f16_e32 v63, v63, v67
	v_add_f16_e32 v12, v12, v17
	v_add_f16_e32 v13, v13, v18
	v_fma_f16 v17, v6, s10, v16
	v_fma_f16 v16, v6, s5, v16
	v_mul_f16_e32 v18, 0xb8d2, v7
	v_add_f16_e32 v56, v56, v60
	v_add_f16_e32 v58, v58, v62
	v_add_f16_e32 v57, v57, v61
	v_add_f16_e32 v59, v59, v63
	v_add_f16_e32 v14, v14, v19
	v_add_f16_e32 v16, v16, v20
	v_fma_f16 v19, v6, s16, v18
	v_fma_f16 v18, v6, s17, v18
	v_mul_f16_e32 v20, 0x3722, v7
	v_add_f16_e32 v38, v38, v56
	v_add_f16_e32 v52, v52, v58
	v_add_f16_e32 v51, v51, v57
	v_add_f16_e32 v55, v55, v59
	v_add_f16_e32 v17, v17, v21
	v_add_f16_e32 v18, v18, v22
	v_fma_f16 v21, v6, s6, v20
	v_fma_f16 v20, v6, s1, v20
	v_mul_f16_e32 v22, 0xb461, v7
	v_mul_f16_e32 v7, 0x2de8, v7
	v_add_f16_e32 v33, v33, v38
	v_add_f16_e32 v35, v35, v52
	;; [unrolled: 1-line block ×6, first 2 shown]
	v_fma_f16 v23, v6, s14, v22
	v_fma_f16 v22, v6, s15, v22
	;; [unrolled: 1-line block ×4, first 2 shown]
	v_mov_b32_e32 v7, 1
	v_add_f16_e32 v29, v29, v33
	v_add_f16_e32 v31, v31, v35
	;; [unrolled: 1-line block ×4, first 2 shown]
	v_mul_u32_u24_e32 v1, 0x66, v1
	v_lshlrev_b32_sdwa v5, v7, v5 dst_sel:DWORD dst_unused:UNUSED_PAD src0_sel:DWORD src1_sel:BYTE_0
	v_add_f16_e32 v25, v25, v29
	v_add_f16_e32 v27, v27, v31
	v_add_f16_e32 v26, v26, v30
	v_add_f16_e32 v28, v28, v32
	v_add3_u32 v1, 0, v1, v5
	v_add_f16_e32 v21, v21, v25
	v_add_f16_e32 v23, v23, v27
	;; [unrolled: 1-line block ×5, first 2 shown]
	ds_write_b16 v1, v54
	ds_write_b16 v1, v10 offset:6
	ds_write_b16 v1, v12 offset:12
	;; [unrolled: 1-line block ×16, first 2 shown]
.LBB0_25:
	s_or_b64 exec, exec, s[2:3]
	v_lshlrev_b32_e32 v1, 2, v53
	s_waitcnt lgkmcnt(0)
	; wave barrier
	s_waitcnt lgkmcnt(0)
	global_load_dwordx4 v[5:8], v1, s[8:9] offset:192
	global_load_dwordx2 v[9:10], v1, s[8:9] offset:208
	ds_read_u16 v1, v4
	ds_read_u16 v11, v4 offset:816
	ds_read_u16 v12, v4 offset:714
	;; [unrolled: 1-line block ×13, first 2 shown]
	s_movk_i32 s0, 0x2b26
	s_mov_b32 s1, 0xbb00
	s_mov_b32 s2, 0xbcab
	s_movk_i32 s3, 0x39e0
	s_mov_b32 s4, 0xb9e0
	s_mov_b32 s5, 0xb574
	s_movk_i32 s6, 0x3574
	s_mov_b32 s7, 0xb70e
	s_waitcnt lgkmcnt(0)
	; wave barrier
	s_waitcnt vmcnt(1) lgkmcnt(0)
	v_mul_f16_sdwa v25, v18, v5 dst_sel:DWORD dst_unused:UNUSED_PAD src0_sel:DWORD src1_sel:WORD_1
	v_mul_f16_sdwa v26, v50, v5 dst_sel:DWORD dst_unused:UNUSED_PAD src0_sel:DWORD src1_sel:WORD_1
	;; [unrolled: 1-line block ×6, first 2 shown]
	s_waitcnt vmcnt(0)
	v_mul_f16_sdwa v33, v23, v9 dst_sel:DWORD dst_unused:UNUSED_PAD src0_sel:DWORD src1_sel:WORD_1
	v_mul_f16_sdwa v34, v49, v9 dst_sel:DWORD dst_unused:UNUSED_PAD src0_sel:DWORD src1_sel:WORD_1
	;; [unrolled: 1-line block ×18, first 2 shown]
	v_fma_f16 v25, v50, v5, v25
	v_fma_f16 v18, v18, v5, -v26
	v_fma_f16 v26, v48, v6, v27
	v_fma_f16 v16, v16, v6, -v28
	;; [unrolled: 2-line block ×12, first 2 shown]
	v_add_f16_e32 v20, v25, v30
	v_add_f16_e32 v32, v18, v21
	v_sub_f16_e32 v25, v25, v30
	v_sub_f16_e32 v18, v18, v21
	v_add_f16_e32 v21, v26, v29
	v_add_f16_e32 v30, v16, v23
	v_sub_f16_e32 v26, v26, v29
	v_sub_f16_e32 v16, v16, v23
	;; [unrolled: 4-line block ×4, first 2 shown]
	v_sub_f16_e32 v20, v20, v23
	v_sub_f16_e32 v32, v32, v29
	;; [unrolled: 1-line block ×4, first 2 shown]
	v_add_f16_e32 v35, v27, v26
	v_add_f16_e32 v37, v11, v16
	v_sub_f16_e32 v38, v27, v26
	v_sub_f16_e32 v39, v11, v16
	;; [unrolled: 1-line block ×4, first 2 shown]
	v_add_f16_e32 v13, v23, v13
	v_add_f16_e32 v23, v29, v28
	v_sub_f16_e32 v27, v25, v27
	v_sub_f16_e32 v11, v18, v11
	v_add_f16_e32 v25, v35, v25
	v_add_f16_e32 v18, v37, v18
	;; [unrolled: 1-line block ×4, first 2 shown]
	v_mul_f16_e32 v20, 0x3a52, v20
	v_mul_f16_e32 v29, 0x3a52, v32
	;; [unrolled: 1-line block ×8, first 2 shown]
	v_fma_f16 v13, v13, s2, v28
	v_fma_f16 v23, v23, s2, v1
	;; [unrolled: 1-line block ×4, first 2 shown]
	v_fma_f16 v32, v33, s3, -v32
	v_fma_f16 v35, v34, s3, -v35
	;; [unrolled: 1-line block ×4, first 2 shown]
	v_fma_f16 v33, v27, s5, v36
	v_fma_f16 v34, v11, s5, v37
	v_fma_f16 v26, v26, s1, -v36
	v_fma_f16 v27, v27, s6, -v38
	;; [unrolled: 1-line block ×4, first 2 shown]
	v_add_f16_e32 v21, v21, v13
	v_add_f16_e32 v30, v30, v23
	;; [unrolled: 1-line block ×6, first 2 shown]
	v_fma_f16 v23, v25, s7, v33
	v_fma_f16 v29, v18, s7, v34
	;; [unrolled: 1-line block ×6, first 2 shown]
	v_add_f16_e32 v18, v29, v21
	v_sub_f16_e32 v27, v30, v23
	v_add_f16_e32 v33, v11, v13
	v_sub_f16_e32 v34, v20, v25
	v_sub_f16_e32 v11, v13, v11
	v_add_f16_e32 v20, v25, v20
	v_sub_f16_e32 v13, v21, v29
	v_add_f16_e32 v21, v23, v30
	v_add_f16_e32 v23, v31, v22
	;; [unrolled: 1-line block ×3, first 2 shown]
	v_sub_f16_e32 v5, v5, v10
	v_add_f16_e32 v10, v17, v24
	v_add_f16_e32 v29, v6, v9
	v_sub_f16_e32 v17, v17, v24
	v_sub_f16_e32 v6, v6, v9
	v_add_f16_e32 v9, v14, v12
	v_add_f16_e32 v24, v7, v8
	v_sub_f16_e32 v12, v12, v14
	;; [unrolled: 4-line block ×3, first 2 shown]
	v_add_f16_e32 v37, v26, v35
	v_add_f16_e32 v16, v16, v32
	v_sub_f16_e32 v26, v35, v26
	v_sub_f16_e32 v22, v31, v22
	;; [unrolled: 1-line block ×8, first 2 shown]
	v_add_f16_e32 v32, v12, v17
	v_add_f16_e32 v35, v7, v6
	v_sub_f16_e32 v39, v7, v6
	v_sub_f16_e32 v6, v6, v5
	v_add_f16_e32 v8, v9, v8
	v_add_f16_e32 v9, v24, v14
	v_sub_f16_e32 v38, v12, v17
	v_sub_f16_e32 v12, v22, v12
	;; [unrolled: 1-line block ×4, first 2 shown]
	v_add_f16_e32 v14, v32, v22
	v_add_f16_e32 v5, v35, v5
	;; [unrolled: 1-line block ×4, first 2 shown]
	v_mul_f16_e32 v22, 0x3a52, v23
	v_mul_f16_e32 v23, 0x3a52, v25
	;; [unrolled: 1-line block ×8, first 2 shown]
	v_fma_f16 v8, v8, s2, v15
	v_fma_f16 v9, v9, s2, v19
	;; [unrolled: 1-line block ×4, first 2 shown]
	v_fma_f16 v24, v30, s3, -v24
	v_fma_f16 v25, v31, s3, -v25
	;; [unrolled: 1-line block ×4, first 2 shown]
	v_fma_f16 v31, v7, s5, v35
	v_fma_f16 v6, v6, s1, -v35
	v_fma_f16 v7, v7, s6, -v39
	v_fma_f16 v30, v12, s5, v32
	v_fma_f16 v17, v17, s1, -v32
	v_fma_f16 v12, v12, s6, -v38
	v_add_f16_e32 v10, v10, v8
	v_add_f16_e32 v29, v29, v9
	;; [unrolled: 1-line block ×6, first 2 shown]
	v_fma_f16 v23, v5, s7, v31
	v_fma_f16 v6, v5, s7, v6
	;; [unrolled: 1-line block ×6, first 2 shown]
	v_add_f16_e32 v7, v23, v10
	v_add_f16_e32 v14, v5, v8
	v_sub_f16_e32 v32, v24, v6
	v_add_f16_e32 v6, v6, v24
	v_sub_f16_e32 v5, v8, v5
	v_sub_f16_e32 v8, v10, v23
	;; [unrolled: 1-line block ×3, first 2 shown]
	v_add_f16_e32 v35, v17, v25
	v_sub_f16_e32 v24, v25, v17
	v_add_f16_e32 v25, v12, v9
	ds_write_b16 v4, v28
	ds_write_b16 v4, v18 offset:102
	ds_write_b16 v4, v33 offset:204
	;; [unrolled: 1-line block ×13, first 2 shown]
	s_waitcnt lgkmcnt(0)
	; wave barrier
	s_waitcnt lgkmcnt(0)
	ds_read_u16 v5, v4
	ds_read_u16 v6, v4 offset:102
	ds_read_u16 v7, v4 offset:204
	;; [unrolled: 1-line block ×13, first 2 shown]
	v_sub_f16_e32 v30, v29, v22
	v_add_f16_e32 v22, v22, v29
	s_waitcnt lgkmcnt(0)
	; wave barrier
	s_waitcnt lgkmcnt(0)
	ds_write_b16 v4, v1
	ds_write_b16 v4, v27 offset:102
	ds_write_b16 v4, v34 offset:204
	;; [unrolled: 1-line block ×13, first 2 shown]
	s_waitcnt lgkmcnt(0)
	; wave barrier
	s_waitcnt lgkmcnt(0)
	s_and_saveexec_b64 s[0:1], vcc
	s_cbranch_execz .LBB0_27
; %bb.26:
	v_mov_b32_e32 v1, 0
	v_lshlrev_b64 v[19:20], 2, v[0:1]
	v_mov_b32_e32 v22, s9
	v_add_co_u32_e32 v21, vcc, s8, v19
	v_addc_co_u32_e32 v22, vcc, v22, v20, vcc
	global_load_dword v23, v[21:22], off offset:2640
	global_load_dword v24, v[21:22], off offset:2436
	;; [unrolled: 1-line block ×7, first 2 shown]
	ds_read_u16 v21, v4 offset:1326
	ds_read_u16 v22, v4 offset:1224
	;; [unrolled: 1-line block ×13, first 2 shown]
	ds_read_u16 v4, v4
	v_add_co_u32_e32 v2, vcc, s12, v2
	s_mov_b32 s0, 0x16f26017
	s_waitcnt vmcnt(6)
	v_lshrrev_b32_e32 v41, 16, v23
	v_mul_f16_e32 v42, v18, v23
	s_waitcnt vmcnt(5)
	v_lshrrev_b32_e32 v43, 16, v24
	v_mul_f16_e32 v44, v17, v24
	s_waitcnt vmcnt(4)
	v_lshrrev_b32_e32 v45, 16, v25
	s_waitcnt vmcnt(1)
	v_lshrrev_b32_e32 v51, 16, v28
	;; [unrolled: 2-line block ×3, first 2 shown]
	v_mul_f16_e32 v46, v16, v25
	v_lshrrev_b32_e32 v47, 16, v26
	v_mul_f16_e32 v48, v15, v26
	v_mul_f16_e32 v52, v13, v28
	;; [unrolled: 1-line block ×5, first 2 shown]
	s_waitcnt lgkmcnt(13)
	v_fma_f16 v42, v21, v41, v42
	v_mul_f16_e32 v18, v18, v41
	s_waitcnt lgkmcnt(12)
	v_fma_f16 v41, v22, v43, v44
	v_mul_f16_e32 v17, v17, v43
	s_waitcnt lgkmcnt(11)
	v_fma_f16 v43, v30, v45, v46
	s_waitcnt lgkmcnt(10)
	v_fma_f16 v44, v31, v47, v48
	v_mul_f16_e32 v15, v15, v47
	s_waitcnt lgkmcnt(8)
	v_fma_f16 v46, v33, v51, v52
	s_waitcnt lgkmcnt(7)
	v_fma_f16 v47, v34, v53, v54
	v_fma_f16 v13, v33, v28, -v13
	v_fma_f16 v12, v34, v29, -v12
	v_mov_b32_e32 v33, s13
	v_fma_f16 v15, v31, v26, -v15
	v_sub_f16_e32 v26, v5, v47
	s_waitcnt lgkmcnt(0)
	v_sub_f16_e32 v12, v4, v12
	v_addc_co_u32_e32 v3, vcc, v33, v3, vcc
	v_lshrrev_b32_e32 v49, 16, v27
	v_mul_f16_e32 v16, v16, v45
	v_fma_f16 v5, v5, 2.0, -v26
	v_fma_f16 v4, v4, 2.0, -v12
	v_add_co_u32_e32 v2, vcc, v2, v19
	v_mul_f16_e32 v50, v14, v27
	v_mul_f16_e32 v14, v14, v49
	v_fma_f16 v16, v30, v25, -v16
	v_sub_f16_e32 v25, v6, v46
	v_sub_f16_e32 v13, v40, v13
	v_addc_co_u32_e32 v3, vcc, v3, v20, vcc
	v_pack_b32_f16 v4, v5, v4
	v_fma_f16 v45, v32, v49, v50
	v_fma_f16 v14, v32, v27, -v14
	v_fma_f16 v6, v6, 2.0, -v25
	v_fma_f16 v32, v40, 2.0, -v13
	global_store_dword v[2:3], v4, off
	v_pack_b32_f16 v4, v26, v12
	v_fma_f16 v17, v22, v24, -v17
	v_sub_f16_e32 v24, v7, v45
	v_sub_f16_e32 v14, v39, v14
	global_store_dword v[2:3], v4, off offset:1428
	v_pack_b32_f16 v4, v6, v32
	v_fma_f16 v7, v7, 2.0, -v24
	v_fma_f16 v31, v39, 2.0, -v14
	global_store_dword v[2:3], v4, off offset:204
	v_pack_b32_f16 v4, v25, v13
	v_add_u32_e32 v5, 0xcc, v0
	v_fma_f16 v18, v21, v23, -v18
	v_sub_f16_e32 v23, v8, v44
	v_sub_f16_e32 v15, v38, v15
	global_store_dword v[2:3], v4, off offset:1632
	v_pack_b32_f16 v4, v7, v31
	v_mul_hi_u32 v5, v5, s0
	v_fma_f16 v8, v8, 2.0, -v23
	v_fma_f16 v30, v38, 2.0, -v15
	global_store_dword v[2:3], v4, off offset:408
	v_pack_b32_f16 v4, v24, v14
	global_store_dword v[2:3], v4, off offset:1836
	v_pack_b32_f16 v4, v8, v30
	;; [unrolled: 2-line block ×3, first 2 shown]
	global_store_dword v[2:3], v4, off offset:2040
	v_lshrrev_b32_e32 v4, 5, v5
	v_mul_u32_u24_e32 v4, 0x165, v4
	v_mov_b32_e32 v5, v1
	v_lshlrev_b64 v[4:5], 2, v[4:5]
	v_add_u32_e32 v7, 0xff, v0
	v_sub_f16_e32 v22, v9, v43
	v_sub_f16_e32 v16, v37, v16
	v_mul_hi_u32 v7, v7, s0
	v_fma_f16 v9, v9, 2.0, -v22
	v_fma_f16 v29, v37, 2.0, -v16
	v_add_co_u32_e32 v4, vcc, v2, v4
	v_add_u32_e32 v0, 0x132, v0
	v_addc_co_u32_e32 v5, vcc, v3, v5, vcc
	v_pack_b32_f16 v6, v9, v29
	v_mul_hi_u32 v0, v0, s0
	global_store_dword v[4:5], v6, off offset:816
	v_pack_b32_f16 v6, v22, v16
	global_store_dword v[4:5], v6, off offset:2244
	v_lshrrev_b32_e32 v4, 5, v7
	v_mul_u32_u24_e32 v4, 0x165, v4
	v_mov_b32_e32 v5, v1
	v_lshlrev_b64 v[4:5], 2, v[4:5]
	v_lshrrev_b32_e32 v0, 5, v0
	v_mul_u32_u24_e32 v0, 0x165, v0
	v_sub_f16_e32 v21, v10, v41
	v_sub_f16_e32 v17, v36, v17
	v_add_co_u32_e32 v4, vcc, v2, v4
	v_lshlrev_b64 v[0:1], 2, v[0:1]
	v_sub_f16_e32 v42, v11, v42
	v_sub_f16_e32 v18, v35, v18
	v_fma_f16 v10, v10, 2.0, -v21
	v_fma_f16 v28, v36, 2.0, -v17
	v_addc_co_u32_e32 v5, vcc, v3, v5, vcc
	v_fma_f16 v11, v11, 2.0, -v42
	v_fma_f16 v27, v35, 2.0, -v18
	v_pack_b32_f16 v6, v10, v28
	v_add_co_u32_e32 v0, vcc, v2, v0
	global_store_dword v[4:5], v6, off offset:1020
	v_pack_b32_f16 v6, v21, v17
	v_addc_co_u32_e32 v1, vcc, v3, v1, vcc
	v_pack_b32_f16 v2, v11, v27
	global_store_dword v[4:5], v6, off offset:2448
	global_store_dword v[0:1], v2, off offset:1224
	v_pack_b32_f16 v2, v42, v18
	global_store_dword v[0:1], v2, off offset:2652
.LBB0_27:
	s_endpgm
	.section	.rodata,"a",@progbits
	.p2align	6, 0x0
	.amdhsa_kernel fft_rtc_back_len714_factors_3_17_7_2_wgs_51_tpt_51_halfLds_half_ip_CI_unitstride_sbrr_dirReg
		.amdhsa_group_segment_fixed_size 0
		.amdhsa_private_segment_fixed_size 0
		.amdhsa_kernarg_size 88
		.amdhsa_user_sgpr_count 6
		.amdhsa_user_sgpr_private_segment_buffer 1
		.amdhsa_user_sgpr_dispatch_ptr 0
		.amdhsa_user_sgpr_queue_ptr 0
		.amdhsa_user_sgpr_kernarg_segment_ptr 1
		.amdhsa_user_sgpr_dispatch_id 0
		.amdhsa_user_sgpr_flat_scratch_init 0
		.amdhsa_user_sgpr_private_segment_size 0
		.amdhsa_uses_dynamic_stack 0
		.amdhsa_system_sgpr_private_segment_wavefront_offset 0
		.amdhsa_system_sgpr_workgroup_id_x 1
		.amdhsa_system_sgpr_workgroup_id_y 0
		.amdhsa_system_sgpr_workgroup_id_z 0
		.amdhsa_system_sgpr_workgroup_info 0
		.amdhsa_system_vgpr_workitem_id 0
		.amdhsa_next_free_vgpr 78
		.amdhsa_next_free_sgpr 22
		.amdhsa_reserve_vcc 1
		.amdhsa_reserve_flat_scratch 0
		.amdhsa_float_round_mode_32 0
		.amdhsa_float_round_mode_16_64 0
		.amdhsa_float_denorm_mode_32 3
		.amdhsa_float_denorm_mode_16_64 3
		.amdhsa_dx10_clamp 1
		.amdhsa_ieee_mode 1
		.amdhsa_fp16_overflow 0
		.amdhsa_exception_fp_ieee_invalid_op 0
		.amdhsa_exception_fp_denorm_src 0
		.amdhsa_exception_fp_ieee_div_zero 0
		.amdhsa_exception_fp_ieee_overflow 0
		.amdhsa_exception_fp_ieee_underflow 0
		.amdhsa_exception_fp_ieee_inexact 0
		.amdhsa_exception_int_div_zero 0
	.end_amdhsa_kernel
	.text
.Lfunc_end0:
	.size	fft_rtc_back_len714_factors_3_17_7_2_wgs_51_tpt_51_halfLds_half_ip_CI_unitstride_sbrr_dirReg, .Lfunc_end0-fft_rtc_back_len714_factors_3_17_7_2_wgs_51_tpt_51_halfLds_half_ip_CI_unitstride_sbrr_dirReg
                                        ; -- End function
	.section	.AMDGPU.csdata,"",@progbits
; Kernel info:
; codeLenInByte = 10876
; NumSgprs: 26
; NumVgprs: 78
; ScratchSize: 0
; MemoryBound: 0
; FloatMode: 240
; IeeeMode: 1
; LDSByteSize: 0 bytes/workgroup (compile time only)
; SGPRBlocks: 3
; VGPRBlocks: 19
; NumSGPRsForWavesPerEU: 26
; NumVGPRsForWavesPerEU: 78
; Occupancy: 3
; WaveLimiterHint : 1
; COMPUTE_PGM_RSRC2:SCRATCH_EN: 0
; COMPUTE_PGM_RSRC2:USER_SGPR: 6
; COMPUTE_PGM_RSRC2:TRAP_HANDLER: 0
; COMPUTE_PGM_RSRC2:TGID_X_EN: 1
; COMPUTE_PGM_RSRC2:TGID_Y_EN: 0
; COMPUTE_PGM_RSRC2:TGID_Z_EN: 0
; COMPUTE_PGM_RSRC2:TIDIG_COMP_CNT: 0
	.type	__hip_cuid_339648291e58fc00,@object ; @__hip_cuid_339648291e58fc00
	.section	.bss,"aw",@nobits
	.globl	__hip_cuid_339648291e58fc00
__hip_cuid_339648291e58fc00:
	.byte	0                               ; 0x0
	.size	__hip_cuid_339648291e58fc00, 1

	.ident	"AMD clang version 19.0.0git (https://github.com/RadeonOpenCompute/llvm-project roc-6.4.0 25133 c7fe45cf4b819c5991fe208aaa96edf142730f1d)"
	.section	".note.GNU-stack","",@progbits
	.addrsig
	.addrsig_sym __hip_cuid_339648291e58fc00
	.amdgpu_metadata
---
amdhsa.kernels:
  - .args:
      - .actual_access:  read_only
        .address_space:  global
        .offset:         0
        .size:           8
        .value_kind:     global_buffer
      - .offset:         8
        .size:           8
        .value_kind:     by_value
      - .actual_access:  read_only
        .address_space:  global
        .offset:         16
        .size:           8
        .value_kind:     global_buffer
      - .actual_access:  read_only
        .address_space:  global
        .offset:         24
        .size:           8
        .value_kind:     global_buffer
      - .offset:         32
        .size:           8
        .value_kind:     by_value
      - .actual_access:  read_only
        .address_space:  global
        .offset:         40
        .size:           8
        .value_kind:     global_buffer
      - .actual_access:  read_only
        .address_space:  global
        .offset:         48
        .size:           8
        .value_kind:     global_buffer
      - .offset:         56
        .size:           4
        .value_kind:     by_value
      - .actual_access:  read_only
        .address_space:  global
        .offset:         64
        .size:           8
        .value_kind:     global_buffer
      - .actual_access:  read_only
        .address_space:  global
        .offset:         72
        .size:           8
        .value_kind:     global_buffer
      - .address_space:  global
        .offset:         80
        .size:           8
        .value_kind:     global_buffer
    .group_segment_fixed_size: 0
    .kernarg_segment_align: 8
    .kernarg_segment_size: 88
    .language:       OpenCL C
    .language_version:
      - 2
      - 0
    .max_flat_workgroup_size: 51
    .name:           fft_rtc_back_len714_factors_3_17_7_2_wgs_51_tpt_51_halfLds_half_ip_CI_unitstride_sbrr_dirReg
    .private_segment_fixed_size: 0
    .sgpr_count:     26
    .sgpr_spill_count: 0
    .symbol:         fft_rtc_back_len714_factors_3_17_7_2_wgs_51_tpt_51_halfLds_half_ip_CI_unitstride_sbrr_dirReg.kd
    .uniform_work_group_size: 1
    .uses_dynamic_stack: false
    .vgpr_count:     78
    .vgpr_spill_count: 0
    .wavefront_size: 64
amdhsa.target:   amdgcn-amd-amdhsa--gfx906
amdhsa.version:
  - 1
  - 2
...

	.end_amdgpu_metadata
